;; amdgpu-corpus repo=LLNL/RAJAPerf kind=compiled arch=gfx906 opt=O3
	.amdgcn_target "amdgcn-amd-amdhsa--gfx906"
	.amdhsa_code_object_version 6
	.section	.text._ZN8rajaperf9polybench12poly_gesummvILm256EEEvPdS2_S2_S2_ddl,"axG",@progbits,_ZN8rajaperf9polybench12poly_gesummvILm256EEEvPdS2_S2_S2_ddl,comdat
	.protected	_ZN8rajaperf9polybench12poly_gesummvILm256EEEvPdS2_S2_S2_ddl ; -- Begin function _ZN8rajaperf9polybench12poly_gesummvILm256EEEvPdS2_S2_S2_ddl
	.globl	_ZN8rajaperf9polybench12poly_gesummvILm256EEEvPdS2_S2_S2_ddl
	.p2align	8
	.type	_ZN8rajaperf9polybench12poly_gesummvILm256EEEvPdS2_S2_S2_ddl,@function
_ZN8rajaperf9polybench12poly_gesummvILm256EEEvPdS2_S2_S2_ddl: ; @_ZN8rajaperf9polybench12poly_gesummvILm256EEEvPdS2_S2_S2_ddl
; %bb.0:
	s_load_dwordx4 s[0:3], s[4:5], 0x30
	s_mov_b32 s7, 0
	s_waitcnt lgkmcnt(0)
	s_lshl_b64 s[2:3], s[6:7], 8
	v_or_b32_e32 v0, s2, v0
	v_mov_b32_e32 v1, s3
	v_cmp_gt_i64_e32 vcc, s[0:1], v[0:1]
	s_and_saveexec_b64 s[2:3], vcc
	s_cbranch_execz .LBB0_4
; %bb.1:
	v_mul_lo_u32 v4, s1, v0
	v_mul_lo_u32 v5, s0, v1
	v_mad_u64_u32 v[2:3], s[2:3], s0, v0, 0
	s_load_dwordx8 s[8:15], s[4:5], 0x0
	s_load_dwordx4 s[16:19], s[4:5], 0x20
	v_mov_b32_e32 v6, 0
	v_add3_u32 v3, v3, v5, v4
	v_lshlrev_b64 v[8:9], 3, v[2:3]
	s_waitcnt lgkmcnt(0)
	v_mov_b32_e32 v3, s13
	v_add_co_u32_e32 v2, vcc, s12, v8
	v_addc_co_u32_e32 v3, vcc, v3, v9, vcc
	v_mov_b32_e32 v10, s15
	v_mov_b32_e32 v4, 0
	v_add_co_u32_e32 v8, vcc, s14, v8
	v_mov_b32_e32 v5, 0
	v_mov_b32_e32 v7, 0
	v_addc_co_u32_e32 v9, vcc, v10, v9, vcc
.LBB0_2:                                ; =>This Inner Loop Header: Depth=1
	global_load_dwordx2 v[10:11], v[2:3], off
	global_load_dwordx2 v[12:13], v[8:9], off
	s_load_dwordx2 s[2:3], s[8:9], 0x0
	s_add_u32 s0, s0, -1
	v_add_co_u32_e32 v2, vcc, 8, v2
	s_addc_u32 s1, s1, -1
	v_addc_co_u32_e32 v3, vcc, 0, v3, vcc
	s_add_u32 s8, s8, 8
	v_add_co_u32_e32 v8, vcc, 8, v8
	s_addc_u32 s9, s9, 0
	s_cmp_eq_u64 s[0:1], 0
	v_addc_co_u32_e32 v9, vcc, 0, v9, vcc
	s_waitcnt vmcnt(1) lgkmcnt(0)
	v_fma_f64 v[6:7], v[10:11], s[2:3], v[6:7]
	s_waitcnt vmcnt(0)
	v_fma_f64 v[4:5], s[2:3], v[12:13], v[4:5]
	s_cbranch_scc0 .LBB0_2
; %bb.3:
	v_mul_f64 v[2:3], s[18:19], v[4:5]
	v_lshlrev_b64 v[0:1], 3, v[0:1]
	v_mov_b32_e32 v4, s11
	v_add_co_u32_e32 v0, vcc, s10, v0
	v_addc_co_u32_e32 v1, vcc, v4, v1, vcc
	v_fma_f64 v[2:3], s[16:17], v[6:7], v[2:3]
	global_store_dwordx2 v[0:1], v[2:3], off
.LBB0_4:
	s_endpgm
	.section	.rodata,"a",@progbits
	.p2align	6, 0x0
	.amdhsa_kernel _ZN8rajaperf9polybench12poly_gesummvILm256EEEvPdS2_S2_S2_ddl
		.amdhsa_group_segment_fixed_size 0
		.amdhsa_private_segment_fixed_size 0
		.amdhsa_kernarg_size 56
		.amdhsa_user_sgpr_count 6
		.amdhsa_user_sgpr_private_segment_buffer 1
		.amdhsa_user_sgpr_dispatch_ptr 0
		.amdhsa_user_sgpr_queue_ptr 0
		.amdhsa_user_sgpr_kernarg_segment_ptr 1
		.amdhsa_user_sgpr_dispatch_id 0
		.amdhsa_user_sgpr_flat_scratch_init 0
		.amdhsa_user_sgpr_private_segment_size 0
		.amdhsa_uses_dynamic_stack 0
		.amdhsa_system_sgpr_private_segment_wavefront_offset 0
		.amdhsa_system_sgpr_workgroup_id_x 1
		.amdhsa_system_sgpr_workgroup_id_y 0
		.amdhsa_system_sgpr_workgroup_id_z 0
		.amdhsa_system_sgpr_workgroup_info 0
		.amdhsa_system_vgpr_workitem_id 0
		.amdhsa_next_free_vgpr 14
		.amdhsa_next_free_sgpr 20
		.amdhsa_reserve_vcc 1
		.amdhsa_reserve_flat_scratch 0
		.amdhsa_float_round_mode_32 0
		.amdhsa_float_round_mode_16_64 0
		.amdhsa_float_denorm_mode_32 3
		.amdhsa_float_denorm_mode_16_64 3
		.amdhsa_dx10_clamp 1
		.amdhsa_ieee_mode 1
		.amdhsa_fp16_overflow 0
		.amdhsa_exception_fp_ieee_invalid_op 0
		.amdhsa_exception_fp_denorm_src 0
		.amdhsa_exception_fp_ieee_div_zero 0
		.amdhsa_exception_fp_ieee_overflow 0
		.amdhsa_exception_fp_ieee_underflow 0
		.amdhsa_exception_fp_ieee_inexact 0
		.amdhsa_exception_int_div_zero 0
	.end_amdhsa_kernel
	.section	.text._ZN8rajaperf9polybench12poly_gesummvILm256EEEvPdS2_S2_S2_ddl,"axG",@progbits,_ZN8rajaperf9polybench12poly_gesummvILm256EEEvPdS2_S2_S2_ddl,comdat
.Lfunc_end0:
	.size	_ZN8rajaperf9polybench12poly_gesummvILm256EEEvPdS2_S2_S2_ddl, .Lfunc_end0-_ZN8rajaperf9polybench12poly_gesummvILm256EEEvPdS2_S2_S2_ddl
                                        ; -- End function
	.set _ZN8rajaperf9polybench12poly_gesummvILm256EEEvPdS2_S2_S2_ddl.num_vgpr, 14
	.set _ZN8rajaperf9polybench12poly_gesummvILm256EEEvPdS2_S2_S2_ddl.num_agpr, 0
	.set _ZN8rajaperf9polybench12poly_gesummvILm256EEEvPdS2_S2_S2_ddl.numbered_sgpr, 20
	.set _ZN8rajaperf9polybench12poly_gesummvILm256EEEvPdS2_S2_S2_ddl.num_named_barrier, 0
	.set _ZN8rajaperf9polybench12poly_gesummvILm256EEEvPdS2_S2_S2_ddl.private_seg_size, 0
	.set _ZN8rajaperf9polybench12poly_gesummvILm256EEEvPdS2_S2_S2_ddl.uses_vcc, 1
	.set _ZN8rajaperf9polybench12poly_gesummvILm256EEEvPdS2_S2_S2_ddl.uses_flat_scratch, 0
	.set _ZN8rajaperf9polybench12poly_gesummvILm256EEEvPdS2_S2_S2_ddl.has_dyn_sized_stack, 0
	.set _ZN8rajaperf9polybench12poly_gesummvILm256EEEvPdS2_S2_S2_ddl.has_recursion, 0
	.set _ZN8rajaperf9polybench12poly_gesummvILm256EEEvPdS2_S2_S2_ddl.has_indirect_call, 0
	.section	.AMDGPU.csdata,"",@progbits
; Kernel info:
; codeLenInByte = 276
; TotalNumSgprs: 24
; NumVgprs: 14
; ScratchSize: 0
; MemoryBound: 0
; FloatMode: 240
; IeeeMode: 1
; LDSByteSize: 0 bytes/workgroup (compile time only)
; SGPRBlocks: 2
; VGPRBlocks: 3
; NumSGPRsForWavesPerEU: 24
; NumVGPRsForWavesPerEU: 14
; Occupancy: 10
; WaveLimiterHint : 0
; COMPUTE_PGM_RSRC2:SCRATCH_EN: 0
; COMPUTE_PGM_RSRC2:USER_SGPR: 6
; COMPUTE_PGM_RSRC2:TRAP_HANDLER: 0
; COMPUTE_PGM_RSRC2:TGID_X_EN: 1
; COMPUTE_PGM_RSRC2:TGID_Y_EN: 0
; COMPUTE_PGM_RSRC2:TGID_Z_EN: 0
; COMPUTE_PGM_RSRC2:TIDIG_COMP_CNT: 0
	.section	.text._ZN4RAJA8internal22HipKernelLauncherFixedILi256ENS0_8LoopDataIN4camp5tupleIJNS_4SpanINS_9Iterators16numeric_iteratorIllPlEElEESA_EEENS4_IJddEEENS3_9resources2v13HipEJZN8rajaperf9polybench17POLYBENCH_GESUMMV17runHipVariantImplILm256EEEvNSG_9VariantIDEEUlRdSL_E_ZNSJ_ILm256EEEvSK_EUlllSL_SL_E_ZNSJ_ILm256EEEvSK_EUllSL_SL_E_EEENS0_24HipStatementListExecutorISP_NS3_4listIJNS_9statement3ForILl0ENS_6policy3hip11hip_indexerINS_17iteration_mapping6DirectELNS_23kernel_sync_requirementE0EJNS_3hip11IndexGlobalILNS_9named_dimE0ELi256ELi0EEEEEEJNSS_6LambdaILl0EJNSR_IJNS0_9LambdaArgINS0_18lambda_arg_param_tELl0EEENS16_IS17_Ll1EEEEEEEEENST_ILl1ENSU_10sequential8seq_execEJNS15_ILl1EJNSR_IJNS16_INS0_16lambda_arg_seg_tELl0EEENS16_IS1E_Ll1EEEEEES1A_EEEEEENS15_ILl2EJNSR_IJS1F_EEES1A_EEEEEEEEENS0_9LoopTypesINSR_IJvvEEES1P_EEEEEEvT0_,"axG",@progbits,_ZN4RAJA8internal22HipKernelLauncherFixedILi256ENS0_8LoopDataIN4camp5tupleIJNS_4SpanINS_9Iterators16numeric_iteratorIllPlEElEESA_EEENS4_IJddEEENS3_9resources2v13HipEJZN8rajaperf9polybench17POLYBENCH_GESUMMV17runHipVariantImplILm256EEEvNSG_9VariantIDEEUlRdSL_E_ZNSJ_ILm256EEEvSK_EUlllSL_SL_E_ZNSJ_ILm256EEEvSK_EUllSL_SL_E_EEENS0_24HipStatementListExecutorISP_NS3_4listIJNS_9statement3ForILl0ENS_6policy3hip11hip_indexerINS_17iteration_mapping6DirectELNS_23kernel_sync_requirementE0EJNS_3hip11IndexGlobalILNS_9named_dimE0ELi256ELi0EEEEEEJNSS_6LambdaILl0EJNSR_IJNS0_9LambdaArgINS0_18lambda_arg_param_tELl0EEENS16_IS17_Ll1EEEEEEEEENST_ILl1ENSU_10sequential8seq_execEJNS15_ILl1EJNSR_IJNS16_INS0_16lambda_arg_seg_tELl0EEENS16_IS1E_Ll1EEEEEES1A_EEEEEENS15_ILl2EJNSR_IJS1F_EEES1A_EEEEEEEEENS0_9LoopTypesINSR_IJvvEEES1P_EEEEEEvT0_,comdat
	.protected	_ZN4RAJA8internal22HipKernelLauncherFixedILi256ENS0_8LoopDataIN4camp5tupleIJNS_4SpanINS_9Iterators16numeric_iteratorIllPlEElEESA_EEENS4_IJddEEENS3_9resources2v13HipEJZN8rajaperf9polybench17POLYBENCH_GESUMMV17runHipVariantImplILm256EEEvNSG_9VariantIDEEUlRdSL_E_ZNSJ_ILm256EEEvSK_EUlllSL_SL_E_ZNSJ_ILm256EEEvSK_EUllSL_SL_E_EEENS0_24HipStatementListExecutorISP_NS3_4listIJNS_9statement3ForILl0ENS_6policy3hip11hip_indexerINS_17iteration_mapping6DirectELNS_23kernel_sync_requirementE0EJNS_3hip11IndexGlobalILNS_9named_dimE0ELi256ELi0EEEEEEJNSS_6LambdaILl0EJNSR_IJNS0_9LambdaArgINS0_18lambda_arg_param_tELl0EEENS16_IS17_Ll1EEEEEEEEENST_ILl1ENSU_10sequential8seq_execEJNS15_ILl1EJNSR_IJNS16_INS0_16lambda_arg_seg_tELl0EEENS16_IS1E_Ll1EEEEEES1A_EEEEEENS15_ILl2EJNSR_IJS1F_EEES1A_EEEEEEEEENS0_9LoopTypesINSR_IJvvEEES1P_EEEEEEvT0_ ; -- Begin function _ZN4RAJA8internal22HipKernelLauncherFixedILi256ENS0_8LoopDataIN4camp5tupleIJNS_4SpanINS_9Iterators16numeric_iteratorIllPlEElEESA_EEENS4_IJddEEENS3_9resources2v13HipEJZN8rajaperf9polybench17POLYBENCH_GESUMMV17runHipVariantImplILm256EEEvNSG_9VariantIDEEUlRdSL_E_ZNSJ_ILm256EEEvSK_EUlllSL_SL_E_ZNSJ_ILm256EEEvSK_EUllSL_SL_E_EEENS0_24HipStatementListExecutorISP_NS3_4listIJNS_9statement3ForILl0ENS_6policy3hip11hip_indexerINS_17iteration_mapping6DirectELNS_23kernel_sync_requirementE0EJNS_3hip11IndexGlobalILNS_9named_dimE0ELi256ELi0EEEEEEJNSS_6LambdaILl0EJNSR_IJNS0_9LambdaArgINS0_18lambda_arg_param_tELl0EEENS16_IS17_Ll1EEEEEEEEENST_ILl1ENSU_10sequential8seq_execEJNS15_ILl1EJNSR_IJNS16_INS0_16lambda_arg_seg_tELl0EEENS16_IS1E_Ll1EEEEEES1A_EEEEEENS15_ILl2EJNSR_IJS1F_EEES1A_EEEEEEEEENS0_9LoopTypesINSR_IJvvEEES1P_EEEEEEvT0_
	.globl	_ZN4RAJA8internal22HipKernelLauncherFixedILi256ENS0_8LoopDataIN4camp5tupleIJNS_4SpanINS_9Iterators16numeric_iteratorIllPlEElEESA_EEENS4_IJddEEENS3_9resources2v13HipEJZN8rajaperf9polybench17POLYBENCH_GESUMMV17runHipVariantImplILm256EEEvNSG_9VariantIDEEUlRdSL_E_ZNSJ_ILm256EEEvSK_EUlllSL_SL_E_ZNSJ_ILm256EEEvSK_EUllSL_SL_E_EEENS0_24HipStatementListExecutorISP_NS3_4listIJNS_9statement3ForILl0ENS_6policy3hip11hip_indexerINS_17iteration_mapping6DirectELNS_23kernel_sync_requirementE0EJNS_3hip11IndexGlobalILNS_9named_dimE0ELi256ELi0EEEEEEJNSS_6LambdaILl0EJNSR_IJNS0_9LambdaArgINS0_18lambda_arg_param_tELl0EEENS16_IS17_Ll1EEEEEEEEENST_ILl1ENSU_10sequential8seq_execEJNS15_ILl1EJNSR_IJNS16_INS0_16lambda_arg_seg_tELl0EEENS16_IS1E_Ll1EEEEEES1A_EEEEEENS15_ILl2EJNSR_IJS1F_EEES1A_EEEEEEEEENS0_9LoopTypesINSR_IJvvEEES1P_EEEEEEvT0_
	.p2align	8
	.type	_ZN4RAJA8internal22HipKernelLauncherFixedILi256ENS0_8LoopDataIN4camp5tupleIJNS_4SpanINS_9Iterators16numeric_iteratorIllPlEElEESA_EEENS4_IJddEEENS3_9resources2v13HipEJZN8rajaperf9polybench17POLYBENCH_GESUMMV17runHipVariantImplILm256EEEvNSG_9VariantIDEEUlRdSL_E_ZNSJ_ILm256EEEvSK_EUlllSL_SL_E_ZNSJ_ILm256EEEvSK_EUllSL_SL_E_EEENS0_24HipStatementListExecutorISP_NS3_4listIJNS_9statement3ForILl0ENS_6policy3hip11hip_indexerINS_17iteration_mapping6DirectELNS_23kernel_sync_requirementE0EJNS_3hip11IndexGlobalILNS_9named_dimE0ELi256ELi0EEEEEEJNSS_6LambdaILl0EJNSR_IJNS0_9LambdaArgINS0_18lambda_arg_param_tELl0EEENS16_IS17_Ll1EEEEEEEEENST_ILl1ENSU_10sequential8seq_execEJNS15_ILl1EJNSR_IJNS16_INS0_16lambda_arg_seg_tELl0EEENS16_IS1E_Ll1EEEEEES1A_EEEEEENS15_ILl2EJNSR_IJS1F_EEES1A_EEEEEEEEENS0_9LoopTypesINSR_IJvvEEES1P_EEEEEEvT0_,@function
_ZN4RAJA8internal22HipKernelLauncherFixedILi256ENS0_8LoopDataIN4camp5tupleIJNS_4SpanINS_9Iterators16numeric_iteratorIllPlEElEESA_EEENS4_IJddEEENS3_9resources2v13HipEJZN8rajaperf9polybench17POLYBENCH_GESUMMV17runHipVariantImplILm256EEEvNSG_9VariantIDEEUlRdSL_E_ZNSJ_ILm256EEEvSK_EUlllSL_SL_E_ZNSJ_ILm256EEEvSK_EUllSL_SL_E_EEENS0_24HipStatementListExecutorISP_NS3_4listIJNS_9statement3ForILl0ENS_6policy3hip11hip_indexerINS_17iteration_mapping6DirectELNS_23kernel_sync_requirementE0EJNS_3hip11IndexGlobalILNS_9named_dimE0ELi256ELi0EEEEEEJNSS_6LambdaILl0EJNSR_IJNS0_9LambdaArgINS0_18lambda_arg_param_tELl0EEENS16_IS17_Ll1EEEEEEEEENST_ILl1ENSU_10sequential8seq_execEJNS15_ILl1EJNSR_IJNS16_INS0_16lambda_arg_seg_tELl0EEENS16_IS1E_Ll1EEEEEES1A_EEEEEENS15_ILl2EJNSR_IJS1F_EEES1A_EEEEEEEEENS0_9LoopTypesINSR_IJvvEEES1P_EEEEEEvT0_: ; @_ZN4RAJA8internal22HipKernelLauncherFixedILi256ENS0_8LoopDataIN4camp5tupleIJNS_4SpanINS_9Iterators16numeric_iteratorIllPlEElEESA_EEENS4_IJddEEENS3_9resources2v13HipEJZN8rajaperf9polybench17POLYBENCH_GESUMMV17runHipVariantImplILm256EEEvNSG_9VariantIDEEUlRdSL_E_ZNSJ_ILm256EEEvSK_EUlllSL_SL_E_ZNSJ_ILm256EEEvSK_EUllSL_SL_E_EEENS0_24HipStatementListExecutorISP_NS3_4listIJNS_9statement3ForILl0ENS_6policy3hip11hip_indexerINS_17iteration_mapping6DirectELNS_23kernel_sync_requirementE0EJNS_3hip11IndexGlobalILNS_9named_dimE0ELi256ELi0EEEEEEJNSS_6LambdaILl0EJNSR_IJNS0_9LambdaArgINS0_18lambda_arg_param_tELl0EEENS16_IS17_Ll1EEEEEEEEENST_ILl1ENSU_10sequential8seq_execEJNS15_ILl1EJNSR_IJNS16_INS0_16lambda_arg_seg_tELl0EEENS16_IS1E_Ll1EEEEEES1A_EEEEEENS15_ILl2EJNSR_IJS1F_EEES1A_EEEEEEEEENS0_9LoopTypesINSR_IJvvEEES1P_EEEEEEvT0_
; %bb.0:
	s_load_dwordx8 s[8:15], s[4:5], 0x0
	s_load_dwordx4 s[20:23], s[4:5], 0x20
	s_load_dwordx2 s[16:17], s[4:5], 0xf8
	s_mov_b32 s7, 0
	s_waitcnt lgkmcnt(0)
	s_sub_u32 s0, s10, s8
	s_subb_u32 s1, s11, s9
	s_lshl_b64 s[2:3], s[6:7], 8
	v_or_b32_e32 v0, s2, v0
	v_mov_b32_e32 v1, s3
	s_sub_u32 s6, s14, s12
	v_cmp_gt_i64_e64 s[0:1], s[0:1], v[0:1]
	s_subb_u32 s7, s15, s13
	v_mov_b32_e32 v2, s21
	v_mov_b32_e32 v4, s23
	v_cmp_lt_i64_e64 s[2:3], s[6:7], 1
	v_cndmask_b32_e64 v3, v2, 0, s[0:1]
	v_mov_b32_e32 v2, s20
	v_cndmask_b32_e64 v5, v4, 0, s[0:1]
	v_mov_b32_e32 v4, s22
	v_cndmask_b32_e64 v2, v2, 0, s[0:1]
	v_cndmask_b32_e64 v4, v4, 0, s[0:1]
	s_and_b64 vcc, exec, s[2:3]
	s_cbranch_vccnz .LBB1_5
; %bb.1:
	s_load_dwordx2 s[2:3], s[4:5], 0xb0
	s_load_dwordx2 s[10:11], s[4:5], 0x58
	v_mov_b32_e32 v6, s9
	v_add_co_u32_e32 v8, vcc, s8, v0
	v_addc_co_u32_e32 v9, vcc, v6, v1, vcc
	s_waitcnt lgkmcnt(0)
	v_mul_lo_u32 v10, s11, v8
	v_mul_lo_u32 v11, s10, v9
	v_mad_u64_u32 v[6:7], s[10:11], s10, v8, 0
	s_load_dwordx2 s[10:11], s[4:5], 0x88
	s_load_dwordx2 s[14:15], s[4:5], 0x40
	s_load_dwordx2 s[18:19], s[4:5], 0xc8
	s_lshl_b64 s[12:13], s[12:13], 3
	v_add3_u32 v7, v7, v11, v10
	v_lshlrev_b64 v[6:7], 3, v[6:7]
	s_waitcnt lgkmcnt(0)
	s_add_u32 s20, s14, s12
	s_addc_u32 s14, s15, s13
	v_mov_b32_e32 v10, s14
	v_mul_lo_u32 v11, s19, v8
	v_mul_lo_u32 v12, s18, v9
	v_mad_u64_u32 v[8:9], s[14:15], s18, v8, 0
	s_add_u32 s10, s10, s12
	s_addc_u32 s11, s11, s13
	v_add3_u32 v9, v9, v12, v11
	v_add_co_u32_e32 v6, vcc, s20, v6
	v_lshlrev_b64 v[8:9], 3, v[8:9]
	s_add_u32 s2, s2, s12
	v_addc_co_u32_e32 v7, vcc, v10, v7, vcc
	s_addc_u32 s3, s3, s13
	v_mov_b32_e32 v10, s3
	v_add_co_u32_e32 v8, vcc, s2, v8
	v_addc_co_u32_e32 v9, vcc, v10, v9, vcc
	s_mov_b64 s[12:13], 0
	s_branch .LBB1_3
.LBB1_2:                                ;   in Loop: Header=BB1_3 Depth=1
	s_or_b64 exec, exec, s[2:3]
	s_add_u32 s12, s12, 1
	v_add_co_u32_e32 v6, vcc, 8, v6
	v_mov_b32_e32 v11, s7
	s_addc_u32 s13, s13, 0
	v_addc_co_u32_e32 v7, vcc, 0, v7, vcc
	v_mov_b32_e32 v10, s6
	v_cmp_lt_i64_e32 vcc, s[12:13], v[10:11]
	s_add_u32 s10, s10, 8
	v_add_co_u32_e64 v8, s[2:3], 8, v8
	s_addc_u32 s11, s11, 0
	v_addc_co_u32_e64 v9, s[2:3], 0, v9, s[2:3]
	s_cbranch_vccz .LBB1_5
.LBB1_3:                                ; =>This Inner Loop Header: Depth=1
	s_and_saveexec_b64 s[2:3], s[0:1]
	s_cbranch_execz .LBB1_2
; %bb.4:                                ;   in Loop: Header=BB1_3 Depth=1
	global_load_dwordx2 v[10:11], v[6:7], off
	global_load_dwordx2 v[12:13], v[8:9], off
	s_load_dwordx2 s[14:15], s[10:11], 0x0
	s_waitcnt vmcnt(1) lgkmcnt(0)
	v_fma_f64 v[2:3], v[10:11], s[14:15], v[2:3]
	s_waitcnt vmcnt(0)
	v_fma_f64 v[4:5], s[14:15], v[12:13], v[4:5]
	s_branch .LBB1_2
.LBB1_5:
	s_load_dwordx4 s[12:15], s[4:5], 0x120
	s_and_saveexec_b64 s[2:3], s[0:1]
	s_cbranch_execz .LBB1_7
; %bb.6:
	s_waitcnt lgkmcnt(0)
	v_mul_f64 v[4:5], s[14:15], v[4:5]
	v_lshlrev_b64 v[0:1], 3, v[0:1]
	v_mov_b32_e32 v6, s17
	v_add_co_u32_e32 v0, vcc, s16, v0
	v_addc_co_u32_e32 v1, vcc, v6, v1, vcc
	s_lshl_b64 s[0:1], s[8:9], 3
	v_fma_f64 v[2:3], s[12:13], v[2:3], v[4:5]
	v_mov_b32_e32 v4, s1
	v_add_co_u32_e32 v0, vcc, s0, v0
	v_addc_co_u32_e32 v1, vcc, v1, v4, vcc
	global_store_dwordx2 v[0:1], v[2:3], off
.LBB1_7:
	s_endpgm
	.section	.rodata,"a",@progbits
	.p2align	6, 0x0
	.amdhsa_kernel _ZN4RAJA8internal22HipKernelLauncherFixedILi256ENS0_8LoopDataIN4camp5tupleIJNS_4SpanINS_9Iterators16numeric_iteratorIllPlEElEESA_EEENS4_IJddEEENS3_9resources2v13HipEJZN8rajaperf9polybench17POLYBENCH_GESUMMV17runHipVariantImplILm256EEEvNSG_9VariantIDEEUlRdSL_E_ZNSJ_ILm256EEEvSK_EUlllSL_SL_E_ZNSJ_ILm256EEEvSK_EUllSL_SL_E_EEENS0_24HipStatementListExecutorISP_NS3_4listIJNS_9statement3ForILl0ENS_6policy3hip11hip_indexerINS_17iteration_mapping6DirectELNS_23kernel_sync_requirementE0EJNS_3hip11IndexGlobalILNS_9named_dimE0ELi256ELi0EEEEEEJNSS_6LambdaILl0EJNSR_IJNS0_9LambdaArgINS0_18lambda_arg_param_tELl0EEENS16_IS17_Ll1EEEEEEEEENST_ILl1ENSU_10sequential8seq_execEJNS15_ILl1EJNSR_IJNS16_INS0_16lambda_arg_seg_tELl0EEENS16_IS1E_Ll1EEEEEES1A_EEEEEENS15_ILl2EJNSR_IJS1F_EEES1A_EEEEEEEEENS0_9LoopTypesINSR_IJvvEEES1P_EEEEEEvT0_
		.amdhsa_group_segment_fixed_size 0
		.amdhsa_private_segment_fixed_size 0
		.amdhsa_kernarg_size 328
		.amdhsa_user_sgpr_count 6
		.amdhsa_user_sgpr_private_segment_buffer 1
		.amdhsa_user_sgpr_dispatch_ptr 0
		.amdhsa_user_sgpr_queue_ptr 0
		.amdhsa_user_sgpr_kernarg_segment_ptr 1
		.amdhsa_user_sgpr_dispatch_id 0
		.amdhsa_user_sgpr_flat_scratch_init 0
		.amdhsa_user_sgpr_private_segment_size 0
		.amdhsa_uses_dynamic_stack 0
		.amdhsa_system_sgpr_private_segment_wavefront_offset 0
		.amdhsa_system_sgpr_workgroup_id_x 1
		.amdhsa_system_sgpr_workgroup_id_y 0
		.amdhsa_system_sgpr_workgroup_id_z 0
		.amdhsa_system_sgpr_workgroup_info 0
		.amdhsa_system_vgpr_workitem_id 0
		.amdhsa_next_free_vgpr 14
		.amdhsa_next_free_sgpr 24
		.amdhsa_reserve_vcc 1
		.amdhsa_reserve_flat_scratch 0
		.amdhsa_float_round_mode_32 0
		.amdhsa_float_round_mode_16_64 0
		.amdhsa_float_denorm_mode_32 3
		.amdhsa_float_denorm_mode_16_64 3
		.amdhsa_dx10_clamp 1
		.amdhsa_ieee_mode 1
		.amdhsa_fp16_overflow 0
		.amdhsa_exception_fp_ieee_invalid_op 0
		.amdhsa_exception_fp_denorm_src 0
		.amdhsa_exception_fp_ieee_div_zero 0
		.amdhsa_exception_fp_ieee_overflow 0
		.amdhsa_exception_fp_ieee_underflow 0
		.amdhsa_exception_fp_ieee_inexact 0
		.amdhsa_exception_int_div_zero 0
	.end_amdhsa_kernel
	.section	.text._ZN4RAJA8internal22HipKernelLauncherFixedILi256ENS0_8LoopDataIN4camp5tupleIJNS_4SpanINS_9Iterators16numeric_iteratorIllPlEElEESA_EEENS4_IJddEEENS3_9resources2v13HipEJZN8rajaperf9polybench17POLYBENCH_GESUMMV17runHipVariantImplILm256EEEvNSG_9VariantIDEEUlRdSL_E_ZNSJ_ILm256EEEvSK_EUlllSL_SL_E_ZNSJ_ILm256EEEvSK_EUllSL_SL_E_EEENS0_24HipStatementListExecutorISP_NS3_4listIJNS_9statement3ForILl0ENS_6policy3hip11hip_indexerINS_17iteration_mapping6DirectELNS_23kernel_sync_requirementE0EJNS_3hip11IndexGlobalILNS_9named_dimE0ELi256ELi0EEEEEEJNSS_6LambdaILl0EJNSR_IJNS0_9LambdaArgINS0_18lambda_arg_param_tELl0EEENS16_IS17_Ll1EEEEEEEEENST_ILl1ENSU_10sequential8seq_execEJNS15_ILl1EJNSR_IJNS16_INS0_16lambda_arg_seg_tELl0EEENS16_IS1E_Ll1EEEEEES1A_EEEEEENS15_ILl2EJNSR_IJS1F_EEES1A_EEEEEEEEENS0_9LoopTypesINSR_IJvvEEES1P_EEEEEEvT0_,"axG",@progbits,_ZN4RAJA8internal22HipKernelLauncherFixedILi256ENS0_8LoopDataIN4camp5tupleIJNS_4SpanINS_9Iterators16numeric_iteratorIllPlEElEESA_EEENS4_IJddEEENS3_9resources2v13HipEJZN8rajaperf9polybench17POLYBENCH_GESUMMV17runHipVariantImplILm256EEEvNSG_9VariantIDEEUlRdSL_E_ZNSJ_ILm256EEEvSK_EUlllSL_SL_E_ZNSJ_ILm256EEEvSK_EUllSL_SL_E_EEENS0_24HipStatementListExecutorISP_NS3_4listIJNS_9statement3ForILl0ENS_6policy3hip11hip_indexerINS_17iteration_mapping6DirectELNS_23kernel_sync_requirementE0EJNS_3hip11IndexGlobalILNS_9named_dimE0ELi256ELi0EEEEEEJNSS_6LambdaILl0EJNSR_IJNS0_9LambdaArgINS0_18lambda_arg_param_tELl0EEENS16_IS17_Ll1EEEEEEEEENST_ILl1ENSU_10sequential8seq_execEJNS15_ILl1EJNSR_IJNS16_INS0_16lambda_arg_seg_tELl0EEENS16_IS1E_Ll1EEEEEES1A_EEEEEENS15_ILl2EJNSR_IJS1F_EEES1A_EEEEEEEEENS0_9LoopTypesINSR_IJvvEEES1P_EEEEEEvT0_,comdat
.Lfunc_end1:
	.size	_ZN4RAJA8internal22HipKernelLauncherFixedILi256ENS0_8LoopDataIN4camp5tupleIJNS_4SpanINS_9Iterators16numeric_iteratorIllPlEElEESA_EEENS4_IJddEEENS3_9resources2v13HipEJZN8rajaperf9polybench17POLYBENCH_GESUMMV17runHipVariantImplILm256EEEvNSG_9VariantIDEEUlRdSL_E_ZNSJ_ILm256EEEvSK_EUlllSL_SL_E_ZNSJ_ILm256EEEvSK_EUllSL_SL_E_EEENS0_24HipStatementListExecutorISP_NS3_4listIJNS_9statement3ForILl0ENS_6policy3hip11hip_indexerINS_17iteration_mapping6DirectELNS_23kernel_sync_requirementE0EJNS_3hip11IndexGlobalILNS_9named_dimE0ELi256ELi0EEEEEEJNSS_6LambdaILl0EJNSR_IJNS0_9LambdaArgINS0_18lambda_arg_param_tELl0EEENS16_IS17_Ll1EEEEEEEEENST_ILl1ENSU_10sequential8seq_execEJNS15_ILl1EJNSR_IJNS16_INS0_16lambda_arg_seg_tELl0EEENS16_IS1E_Ll1EEEEEES1A_EEEEEENS15_ILl2EJNSR_IJS1F_EEES1A_EEEEEEEEENS0_9LoopTypesINSR_IJvvEEES1P_EEEEEEvT0_, .Lfunc_end1-_ZN4RAJA8internal22HipKernelLauncherFixedILi256ENS0_8LoopDataIN4camp5tupleIJNS_4SpanINS_9Iterators16numeric_iteratorIllPlEElEESA_EEENS4_IJddEEENS3_9resources2v13HipEJZN8rajaperf9polybench17POLYBENCH_GESUMMV17runHipVariantImplILm256EEEvNSG_9VariantIDEEUlRdSL_E_ZNSJ_ILm256EEEvSK_EUlllSL_SL_E_ZNSJ_ILm256EEEvSK_EUllSL_SL_E_EEENS0_24HipStatementListExecutorISP_NS3_4listIJNS_9statement3ForILl0ENS_6policy3hip11hip_indexerINS_17iteration_mapping6DirectELNS_23kernel_sync_requirementE0EJNS_3hip11IndexGlobalILNS_9named_dimE0ELi256ELi0EEEEEEJNSS_6LambdaILl0EJNSR_IJNS0_9LambdaArgINS0_18lambda_arg_param_tELl0EEENS16_IS17_Ll1EEEEEEEEENST_ILl1ENSU_10sequential8seq_execEJNS15_ILl1EJNSR_IJNS16_INS0_16lambda_arg_seg_tELl0EEENS16_IS1E_Ll1EEEEEES1A_EEEEEENS15_ILl2EJNSR_IJS1F_EEES1A_EEEEEEEEENS0_9LoopTypesINSR_IJvvEEES1P_EEEEEEvT0_
                                        ; -- End function
	.set _ZN4RAJA8internal22HipKernelLauncherFixedILi256ENS0_8LoopDataIN4camp5tupleIJNS_4SpanINS_9Iterators16numeric_iteratorIllPlEElEESA_EEENS4_IJddEEENS3_9resources2v13HipEJZN8rajaperf9polybench17POLYBENCH_GESUMMV17runHipVariantImplILm256EEEvNSG_9VariantIDEEUlRdSL_E_ZNSJ_ILm256EEEvSK_EUlllSL_SL_E_ZNSJ_ILm256EEEvSK_EUllSL_SL_E_EEENS0_24HipStatementListExecutorISP_NS3_4listIJNS_9statement3ForILl0ENS_6policy3hip11hip_indexerINS_17iteration_mapping6DirectELNS_23kernel_sync_requirementE0EJNS_3hip11IndexGlobalILNS_9named_dimE0ELi256ELi0EEEEEEJNSS_6LambdaILl0EJNSR_IJNS0_9LambdaArgINS0_18lambda_arg_param_tELl0EEENS16_IS17_Ll1EEEEEEEEENST_ILl1ENSU_10sequential8seq_execEJNS15_ILl1EJNSR_IJNS16_INS0_16lambda_arg_seg_tELl0EEENS16_IS1E_Ll1EEEEEES1A_EEEEEENS15_ILl2EJNSR_IJS1F_EEES1A_EEEEEEEEENS0_9LoopTypesINSR_IJvvEEES1P_EEEEEEvT0_.num_vgpr, 14
	.set _ZN4RAJA8internal22HipKernelLauncherFixedILi256ENS0_8LoopDataIN4camp5tupleIJNS_4SpanINS_9Iterators16numeric_iteratorIllPlEElEESA_EEENS4_IJddEEENS3_9resources2v13HipEJZN8rajaperf9polybench17POLYBENCH_GESUMMV17runHipVariantImplILm256EEEvNSG_9VariantIDEEUlRdSL_E_ZNSJ_ILm256EEEvSK_EUlllSL_SL_E_ZNSJ_ILm256EEEvSK_EUllSL_SL_E_EEENS0_24HipStatementListExecutorISP_NS3_4listIJNS_9statement3ForILl0ENS_6policy3hip11hip_indexerINS_17iteration_mapping6DirectELNS_23kernel_sync_requirementE0EJNS_3hip11IndexGlobalILNS_9named_dimE0ELi256ELi0EEEEEEJNSS_6LambdaILl0EJNSR_IJNS0_9LambdaArgINS0_18lambda_arg_param_tELl0EEENS16_IS17_Ll1EEEEEEEEENST_ILl1ENSU_10sequential8seq_execEJNS15_ILl1EJNSR_IJNS16_INS0_16lambda_arg_seg_tELl0EEENS16_IS1E_Ll1EEEEEES1A_EEEEEENS15_ILl2EJNSR_IJS1F_EEES1A_EEEEEEEEENS0_9LoopTypesINSR_IJvvEEES1P_EEEEEEvT0_.num_agpr, 0
	.set _ZN4RAJA8internal22HipKernelLauncherFixedILi256ENS0_8LoopDataIN4camp5tupleIJNS_4SpanINS_9Iterators16numeric_iteratorIllPlEElEESA_EEENS4_IJddEEENS3_9resources2v13HipEJZN8rajaperf9polybench17POLYBENCH_GESUMMV17runHipVariantImplILm256EEEvNSG_9VariantIDEEUlRdSL_E_ZNSJ_ILm256EEEvSK_EUlllSL_SL_E_ZNSJ_ILm256EEEvSK_EUllSL_SL_E_EEENS0_24HipStatementListExecutorISP_NS3_4listIJNS_9statement3ForILl0ENS_6policy3hip11hip_indexerINS_17iteration_mapping6DirectELNS_23kernel_sync_requirementE0EJNS_3hip11IndexGlobalILNS_9named_dimE0ELi256ELi0EEEEEEJNSS_6LambdaILl0EJNSR_IJNS0_9LambdaArgINS0_18lambda_arg_param_tELl0EEENS16_IS17_Ll1EEEEEEEEENST_ILl1ENSU_10sequential8seq_execEJNS15_ILl1EJNSR_IJNS16_INS0_16lambda_arg_seg_tELl0EEENS16_IS1E_Ll1EEEEEES1A_EEEEEENS15_ILl2EJNSR_IJS1F_EEES1A_EEEEEEEEENS0_9LoopTypesINSR_IJvvEEES1P_EEEEEEvT0_.numbered_sgpr, 24
	.set _ZN4RAJA8internal22HipKernelLauncherFixedILi256ENS0_8LoopDataIN4camp5tupleIJNS_4SpanINS_9Iterators16numeric_iteratorIllPlEElEESA_EEENS4_IJddEEENS3_9resources2v13HipEJZN8rajaperf9polybench17POLYBENCH_GESUMMV17runHipVariantImplILm256EEEvNSG_9VariantIDEEUlRdSL_E_ZNSJ_ILm256EEEvSK_EUlllSL_SL_E_ZNSJ_ILm256EEEvSK_EUllSL_SL_E_EEENS0_24HipStatementListExecutorISP_NS3_4listIJNS_9statement3ForILl0ENS_6policy3hip11hip_indexerINS_17iteration_mapping6DirectELNS_23kernel_sync_requirementE0EJNS_3hip11IndexGlobalILNS_9named_dimE0ELi256ELi0EEEEEEJNSS_6LambdaILl0EJNSR_IJNS0_9LambdaArgINS0_18lambda_arg_param_tELl0EEENS16_IS17_Ll1EEEEEEEEENST_ILl1ENSU_10sequential8seq_execEJNS15_ILl1EJNSR_IJNS16_INS0_16lambda_arg_seg_tELl0EEENS16_IS1E_Ll1EEEEEES1A_EEEEEENS15_ILl2EJNSR_IJS1F_EEES1A_EEEEEEEEENS0_9LoopTypesINSR_IJvvEEES1P_EEEEEEvT0_.num_named_barrier, 0
	.set _ZN4RAJA8internal22HipKernelLauncherFixedILi256ENS0_8LoopDataIN4camp5tupleIJNS_4SpanINS_9Iterators16numeric_iteratorIllPlEElEESA_EEENS4_IJddEEENS3_9resources2v13HipEJZN8rajaperf9polybench17POLYBENCH_GESUMMV17runHipVariantImplILm256EEEvNSG_9VariantIDEEUlRdSL_E_ZNSJ_ILm256EEEvSK_EUlllSL_SL_E_ZNSJ_ILm256EEEvSK_EUllSL_SL_E_EEENS0_24HipStatementListExecutorISP_NS3_4listIJNS_9statement3ForILl0ENS_6policy3hip11hip_indexerINS_17iteration_mapping6DirectELNS_23kernel_sync_requirementE0EJNS_3hip11IndexGlobalILNS_9named_dimE0ELi256ELi0EEEEEEJNSS_6LambdaILl0EJNSR_IJNS0_9LambdaArgINS0_18lambda_arg_param_tELl0EEENS16_IS17_Ll1EEEEEEEEENST_ILl1ENSU_10sequential8seq_execEJNS15_ILl1EJNSR_IJNS16_INS0_16lambda_arg_seg_tELl0EEENS16_IS1E_Ll1EEEEEES1A_EEEEEENS15_ILl2EJNSR_IJS1F_EEES1A_EEEEEEEEENS0_9LoopTypesINSR_IJvvEEES1P_EEEEEEvT0_.private_seg_size, 0
	.set _ZN4RAJA8internal22HipKernelLauncherFixedILi256ENS0_8LoopDataIN4camp5tupleIJNS_4SpanINS_9Iterators16numeric_iteratorIllPlEElEESA_EEENS4_IJddEEENS3_9resources2v13HipEJZN8rajaperf9polybench17POLYBENCH_GESUMMV17runHipVariantImplILm256EEEvNSG_9VariantIDEEUlRdSL_E_ZNSJ_ILm256EEEvSK_EUlllSL_SL_E_ZNSJ_ILm256EEEvSK_EUllSL_SL_E_EEENS0_24HipStatementListExecutorISP_NS3_4listIJNS_9statement3ForILl0ENS_6policy3hip11hip_indexerINS_17iteration_mapping6DirectELNS_23kernel_sync_requirementE0EJNS_3hip11IndexGlobalILNS_9named_dimE0ELi256ELi0EEEEEEJNSS_6LambdaILl0EJNSR_IJNS0_9LambdaArgINS0_18lambda_arg_param_tELl0EEENS16_IS17_Ll1EEEEEEEEENST_ILl1ENSU_10sequential8seq_execEJNS15_ILl1EJNSR_IJNS16_INS0_16lambda_arg_seg_tELl0EEENS16_IS1E_Ll1EEEEEES1A_EEEEEENS15_ILl2EJNSR_IJS1F_EEES1A_EEEEEEEEENS0_9LoopTypesINSR_IJvvEEES1P_EEEEEEvT0_.uses_vcc, 1
	.set _ZN4RAJA8internal22HipKernelLauncherFixedILi256ENS0_8LoopDataIN4camp5tupleIJNS_4SpanINS_9Iterators16numeric_iteratorIllPlEElEESA_EEENS4_IJddEEENS3_9resources2v13HipEJZN8rajaperf9polybench17POLYBENCH_GESUMMV17runHipVariantImplILm256EEEvNSG_9VariantIDEEUlRdSL_E_ZNSJ_ILm256EEEvSK_EUlllSL_SL_E_ZNSJ_ILm256EEEvSK_EUllSL_SL_E_EEENS0_24HipStatementListExecutorISP_NS3_4listIJNS_9statement3ForILl0ENS_6policy3hip11hip_indexerINS_17iteration_mapping6DirectELNS_23kernel_sync_requirementE0EJNS_3hip11IndexGlobalILNS_9named_dimE0ELi256ELi0EEEEEEJNSS_6LambdaILl0EJNSR_IJNS0_9LambdaArgINS0_18lambda_arg_param_tELl0EEENS16_IS17_Ll1EEEEEEEEENST_ILl1ENSU_10sequential8seq_execEJNS15_ILl1EJNSR_IJNS16_INS0_16lambda_arg_seg_tELl0EEENS16_IS1E_Ll1EEEEEES1A_EEEEEENS15_ILl2EJNSR_IJS1F_EEES1A_EEEEEEEEENS0_9LoopTypesINSR_IJvvEEES1P_EEEEEEvT0_.uses_flat_scratch, 0
	.set _ZN4RAJA8internal22HipKernelLauncherFixedILi256ENS0_8LoopDataIN4camp5tupleIJNS_4SpanINS_9Iterators16numeric_iteratorIllPlEElEESA_EEENS4_IJddEEENS3_9resources2v13HipEJZN8rajaperf9polybench17POLYBENCH_GESUMMV17runHipVariantImplILm256EEEvNSG_9VariantIDEEUlRdSL_E_ZNSJ_ILm256EEEvSK_EUlllSL_SL_E_ZNSJ_ILm256EEEvSK_EUllSL_SL_E_EEENS0_24HipStatementListExecutorISP_NS3_4listIJNS_9statement3ForILl0ENS_6policy3hip11hip_indexerINS_17iteration_mapping6DirectELNS_23kernel_sync_requirementE0EJNS_3hip11IndexGlobalILNS_9named_dimE0ELi256ELi0EEEEEEJNSS_6LambdaILl0EJNSR_IJNS0_9LambdaArgINS0_18lambda_arg_param_tELl0EEENS16_IS17_Ll1EEEEEEEEENST_ILl1ENSU_10sequential8seq_execEJNS15_ILl1EJNSR_IJNS16_INS0_16lambda_arg_seg_tELl0EEENS16_IS1E_Ll1EEEEEES1A_EEEEEENS15_ILl2EJNSR_IJS1F_EEES1A_EEEEEEEEENS0_9LoopTypesINSR_IJvvEEES1P_EEEEEEvT0_.has_dyn_sized_stack, 0
	.set _ZN4RAJA8internal22HipKernelLauncherFixedILi256ENS0_8LoopDataIN4camp5tupleIJNS_4SpanINS_9Iterators16numeric_iteratorIllPlEElEESA_EEENS4_IJddEEENS3_9resources2v13HipEJZN8rajaperf9polybench17POLYBENCH_GESUMMV17runHipVariantImplILm256EEEvNSG_9VariantIDEEUlRdSL_E_ZNSJ_ILm256EEEvSK_EUlllSL_SL_E_ZNSJ_ILm256EEEvSK_EUllSL_SL_E_EEENS0_24HipStatementListExecutorISP_NS3_4listIJNS_9statement3ForILl0ENS_6policy3hip11hip_indexerINS_17iteration_mapping6DirectELNS_23kernel_sync_requirementE0EJNS_3hip11IndexGlobalILNS_9named_dimE0ELi256ELi0EEEEEEJNSS_6LambdaILl0EJNSR_IJNS0_9LambdaArgINS0_18lambda_arg_param_tELl0EEENS16_IS17_Ll1EEEEEEEEENST_ILl1ENSU_10sequential8seq_execEJNS15_ILl1EJNSR_IJNS16_INS0_16lambda_arg_seg_tELl0EEENS16_IS1E_Ll1EEEEEES1A_EEEEEENS15_ILl2EJNSR_IJS1F_EEES1A_EEEEEEEEENS0_9LoopTypesINSR_IJvvEEES1P_EEEEEEvT0_.has_recursion, 0
	.set _ZN4RAJA8internal22HipKernelLauncherFixedILi256ENS0_8LoopDataIN4camp5tupleIJNS_4SpanINS_9Iterators16numeric_iteratorIllPlEElEESA_EEENS4_IJddEEENS3_9resources2v13HipEJZN8rajaperf9polybench17POLYBENCH_GESUMMV17runHipVariantImplILm256EEEvNSG_9VariantIDEEUlRdSL_E_ZNSJ_ILm256EEEvSK_EUlllSL_SL_E_ZNSJ_ILm256EEEvSK_EUllSL_SL_E_EEENS0_24HipStatementListExecutorISP_NS3_4listIJNS_9statement3ForILl0ENS_6policy3hip11hip_indexerINS_17iteration_mapping6DirectELNS_23kernel_sync_requirementE0EJNS_3hip11IndexGlobalILNS_9named_dimE0ELi256ELi0EEEEEEJNSS_6LambdaILl0EJNSR_IJNS0_9LambdaArgINS0_18lambda_arg_param_tELl0EEENS16_IS17_Ll1EEEEEEEEENST_ILl1ENSU_10sequential8seq_execEJNS15_ILl1EJNSR_IJNS16_INS0_16lambda_arg_seg_tELl0EEENS16_IS1E_Ll1EEEEEES1A_EEEEEENS15_ILl2EJNSR_IJS1F_EEES1A_EEEEEEEEENS0_9LoopTypesINSR_IJvvEEES1P_EEEEEEvT0_.has_indirect_call, 0
	.section	.AMDGPU.csdata,"",@progbits
; Kernel info:
; codeLenInByte = 536
; TotalNumSgprs: 28
; NumVgprs: 14
; ScratchSize: 0
; MemoryBound: 1
; FloatMode: 240
; IeeeMode: 1
; LDSByteSize: 0 bytes/workgroup (compile time only)
; SGPRBlocks: 3
; VGPRBlocks: 3
; NumSGPRsForWavesPerEU: 28
; NumVGPRsForWavesPerEU: 14
; Occupancy: 10
; WaveLimiterHint : 1
; COMPUTE_PGM_RSRC2:SCRATCH_EN: 0
; COMPUTE_PGM_RSRC2:USER_SGPR: 6
; COMPUTE_PGM_RSRC2:TRAP_HANDLER: 0
; COMPUTE_PGM_RSRC2:TGID_X_EN: 1
; COMPUTE_PGM_RSRC2:TGID_Y_EN: 0
; COMPUTE_PGM_RSRC2:TGID_Z_EN: 0
; COMPUTE_PGM_RSRC2:TIDIG_COMP_CNT: 0
	.section	.AMDGPU.gpr_maximums,"",@progbits
	.set amdgpu.max_num_vgpr, 0
	.set amdgpu.max_num_agpr, 0
	.set amdgpu.max_num_sgpr, 0
	.section	.AMDGPU.csdata,"",@progbits
	.type	__hip_cuid_22b927e69b7aeb1c,@object ; @__hip_cuid_22b927e69b7aeb1c
	.section	.bss,"aw",@nobits
	.globl	__hip_cuid_22b927e69b7aeb1c
__hip_cuid_22b927e69b7aeb1c:
	.byte	0                               ; 0x0
	.size	__hip_cuid_22b927e69b7aeb1c, 1

	.ident	"AMD clang version 22.0.0git (https://github.com/RadeonOpenCompute/llvm-project roc-7.2.4 26084 f58b06dce1f9c15707c5f808fd002e18c2accf7e)"
	.section	".note.GNU-stack","",@progbits
	.addrsig
	.addrsig_sym __hip_cuid_22b927e69b7aeb1c
	.amdgpu_metadata
---
amdhsa.kernels:
  - .args:
      - .address_space:  global
        .offset:         0
        .size:           8
        .value_kind:     global_buffer
      - .address_space:  global
        .offset:         8
        .size:           8
        .value_kind:     global_buffer
      - .address_space:  global
        .offset:         16
        .size:           8
        .value_kind:     global_buffer
      - .address_space:  global
        .offset:         24
        .size:           8
        .value_kind:     global_buffer
      - .offset:         32
        .size:           8
        .value_kind:     by_value
      - .offset:         40
        .size:           8
        .value_kind:     by_value
      - .offset:         48
        .size:           8
        .value_kind:     by_value
    .group_segment_fixed_size: 0
    .kernarg_segment_align: 8
    .kernarg_segment_size: 56
    .language:       OpenCL C
    .language_version:
      - 2
      - 0
    .max_flat_workgroup_size: 256
    .name:           _ZN8rajaperf9polybench12poly_gesummvILm256EEEvPdS2_S2_S2_ddl
    .private_segment_fixed_size: 0
    .sgpr_count:     24
    .sgpr_spill_count: 0
    .symbol:         _ZN8rajaperf9polybench12poly_gesummvILm256EEEvPdS2_S2_S2_ddl.kd
    .uniform_work_group_size: 1
    .uses_dynamic_stack: false
    .vgpr_count:     14
    .vgpr_spill_count: 0
    .wavefront_size: 64
  - .args:
      - .offset:         0
        .size:           328
        .value_kind:     by_value
    .group_segment_fixed_size: 0
    .kernarg_segment_align: 8
    .kernarg_segment_size: 328
    .language:       OpenCL C
    .language_version:
      - 2
      - 0
    .max_flat_workgroup_size: 256
    .name:           _ZN4RAJA8internal22HipKernelLauncherFixedILi256ENS0_8LoopDataIN4camp5tupleIJNS_4SpanINS_9Iterators16numeric_iteratorIllPlEElEESA_EEENS4_IJddEEENS3_9resources2v13HipEJZN8rajaperf9polybench17POLYBENCH_GESUMMV17runHipVariantImplILm256EEEvNSG_9VariantIDEEUlRdSL_E_ZNSJ_ILm256EEEvSK_EUlllSL_SL_E_ZNSJ_ILm256EEEvSK_EUllSL_SL_E_EEENS0_24HipStatementListExecutorISP_NS3_4listIJNS_9statement3ForILl0ENS_6policy3hip11hip_indexerINS_17iteration_mapping6DirectELNS_23kernel_sync_requirementE0EJNS_3hip11IndexGlobalILNS_9named_dimE0ELi256ELi0EEEEEEJNSS_6LambdaILl0EJNSR_IJNS0_9LambdaArgINS0_18lambda_arg_param_tELl0EEENS16_IS17_Ll1EEEEEEEEENST_ILl1ENSU_10sequential8seq_execEJNS15_ILl1EJNSR_IJNS16_INS0_16lambda_arg_seg_tELl0EEENS16_IS1E_Ll1EEEEEES1A_EEEEEENS15_ILl2EJNSR_IJS1F_EEES1A_EEEEEEEEENS0_9LoopTypesINSR_IJvvEEES1P_EEEEEEvT0_
    .private_segment_fixed_size: 0
    .sgpr_count:     28
    .sgpr_spill_count: 0
    .symbol:         _ZN4RAJA8internal22HipKernelLauncherFixedILi256ENS0_8LoopDataIN4camp5tupleIJNS_4SpanINS_9Iterators16numeric_iteratorIllPlEElEESA_EEENS4_IJddEEENS3_9resources2v13HipEJZN8rajaperf9polybench17POLYBENCH_GESUMMV17runHipVariantImplILm256EEEvNSG_9VariantIDEEUlRdSL_E_ZNSJ_ILm256EEEvSK_EUlllSL_SL_E_ZNSJ_ILm256EEEvSK_EUllSL_SL_E_EEENS0_24HipStatementListExecutorISP_NS3_4listIJNS_9statement3ForILl0ENS_6policy3hip11hip_indexerINS_17iteration_mapping6DirectELNS_23kernel_sync_requirementE0EJNS_3hip11IndexGlobalILNS_9named_dimE0ELi256ELi0EEEEEEJNSS_6LambdaILl0EJNSR_IJNS0_9LambdaArgINS0_18lambda_arg_param_tELl0EEENS16_IS17_Ll1EEEEEEEEENST_ILl1ENSU_10sequential8seq_execEJNS15_ILl1EJNSR_IJNS16_INS0_16lambda_arg_seg_tELl0EEENS16_IS1E_Ll1EEEEEES1A_EEEEEENS15_ILl2EJNSR_IJS1F_EEES1A_EEEEEEEEENS0_9LoopTypesINSR_IJvvEEES1P_EEEEEEvT0_.kd
    .uniform_work_group_size: 1
    .uses_dynamic_stack: false
    .vgpr_count:     14
    .vgpr_spill_count: 0
    .wavefront_size: 64
amdhsa.target:   amdgcn-amd-amdhsa--gfx906
amdhsa.version:
  - 1
  - 2
...

	.end_amdgpu_metadata
